;; amdgpu-corpus repo=ROCm/rocFFT kind=compiled arch=gfx1201 opt=O3
	.text
	.amdgcn_target "amdgcn-amd-amdhsa--gfx1201"
	.amdhsa_code_object_version 6
	.protected	bluestein_single_back_len1344_dim1_dp_op_CI_CI ; -- Begin function bluestein_single_back_len1344_dim1_dp_op_CI_CI
	.globl	bluestein_single_back_len1344_dim1_dp_op_CI_CI
	.p2align	8
	.type	bluestein_single_back_len1344_dim1_dp_op_CI_CI,@function
bluestein_single_back_len1344_dim1_dp_op_CI_CI: ; @bluestein_single_back_len1344_dim1_dp_op_CI_CI
; %bb.0:
	s_load_b128 s[16:19], s[0:1], 0x28
	v_mul_u32_u24_e32 v1, 0x125, v0
	s_mov_b32 s2, exec_lo
	v_mov_b32_e32 v113, 0
	s_delay_alu instid0(VALU_DEP_2) | instskip(NEXT) | instid1(VALU_DEP_1)
	v_lshrrev_b32_e32 v1, 16, v1
	v_add_nc_u32_e32 v112, ttmp9, v1
	s_wait_kmcnt 0x0
	s_delay_alu instid0(VALU_DEP_1)
	v_cmpx_gt_u64_e64 s[16:17], v[112:113]
	s_cbranch_execz .LBB0_10
; %bb.1:
	s_clause 0x1
	s_load_b128 s[4:7], s[0:1], 0x18
	s_load_b128 s[8:11], s[0:1], 0x0
	v_mul_lo_u16 v1, 0xe0, v1
	s_delay_alu instid0(VALU_DEP_1) | instskip(NEXT) | instid1(VALU_DEP_1)
	v_sub_nc_u16 v60, v0, v1
	v_and_b32_e32 v143, 0xffff, v60
	s_delay_alu instid0(VALU_DEP_1)
	v_lshlrev_b32_e32 v147, 5, v143
	v_and_b32_e32 v78, 31, v143
	v_and_b32_e32 v108, 63, v143
	s_wait_kmcnt 0x0
	s_load_b128 s[12:15], s[4:5], 0x0
	v_lshlrev_b32_e32 v144, 4, v143
	s_wait_kmcnt 0x0
	v_mad_co_u64_u32 v[0:1], null, s14, v112, 0
	v_mad_co_u64_u32 v[2:3], null, s12, v143, 0
	s_mul_u64 s[2:3], s[12:13], 0x2a00
	s_mul_i32 s4, s13, 0xffffe400
	s_delay_alu instid0(SALU_CYCLE_1) | instskip(NEXT) | instid1(VALU_DEP_1)
	s_sub_co_i32 s4, s4, s12
	v_mad_co_u64_u32 v[4:5], null, s15, v112, v[1:2]
	s_delay_alu instid0(VALU_DEP_1) | instskip(SKIP_2) | instid1(VALU_DEP_1)
	v_mad_co_u64_u32 v[5:6], null, s13, v143, v[3:4]
	v_mov_b32_e32 v1, v4
	s_mov_b32 s13, 0xbfebb67a
	v_lshlrev_b64_e32 v[0:1], 4, v[0:1]
	s_delay_alu instid0(VALU_DEP_3) | instskip(NEXT) | instid1(VALU_DEP_2)
	v_mov_b32_e32 v3, v5
	v_add_co_u32 v0, vcc_lo, s18, v0
	s_delay_alu instid0(VALU_DEP_2) | instskip(NEXT) | instid1(VALU_DEP_4)
	v_lshlrev_b64_e32 v[2:3], 4, v[2:3]
	v_add_co_ci_u32_e32 v1, vcc_lo, s19, v1, vcc_lo
	s_delay_alu instid0(VALU_DEP_2) | instskip(SKIP_1) | instid1(VALU_DEP_2)
	v_add_co_u32 v16, vcc_lo, v0, v2
	s_wait_alu 0xfffd
	v_add_co_ci_u32_e32 v17, vcc_lo, v1, v3, vcc_lo
	s_delay_alu instid0(VALU_DEP_2) | instskip(SKIP_1) | instid1(VALU_DEP_2)
	v_add_co_u32 v18, vcc_lo, v16, s2
	s_wait_alu 0xfffd
	v_add_co_ci_u32_e32 v19, vcc_lo, s3, v17, vcc_lo
	s_clause 0x3
	global_load_b128 v[4:7], v144, s[8:9] offset:10752
	global_load_b128 v[12:15], v144, s[8:9]
	global_load_b128 v[8:11], v144, s[8:9] offset:3584
	global_load_b128 v[0:3], v144, s[8:9] offset:14336
	s_clause 0x1
	global_load_b128 v[24:27], v[16:17], off
	global_load_b128 v[28:31], v[18:19], off
	v_mad_co_u64_u32 v[20:21], null, 0xffffe400, s12, v[18:19]
	s_delay_alu instid0(VALU_DEP_1) | instskip(NEXT) | instid1(VALU_DEP_2)
	v_add_nc_u32_e32 v21, s4, v21
	v_add_co_u32 v22, vcc_lo, v20, s2
	s_wait_alu 0xfffd
	s_delay_alu instid0(VALU_DEP_2) | instskip(SKIP_2) | instid1(VALU_DEP_1)
	v_add_co_ci_u32_e32 v23, vcc_lo, s3, v21, vcc_lo
	global_load_b128 v[32:35], v[20:21], off
	v_mad_co_u64_u32 v[40:41], null, 0xffffe400, s12, v[22:23]
	v_add_nc_u32_e32 v41, s4, v41
	s_delay_alu instid0(VALU_DEP_2) | instskip(SKIP_1) | instid1(VALU_DEP_2)
	v_add_co_u32 v44, vcc_lo, v40, s2
	s_wait_alu 0xfffd
	v_add_co_ci_u32_e32 v45, vcc_lo, s3, v41, vcc_lo
	global_load_b128 v[36:39], v[22:23], off
	global_load_b128 v[16:19], v144, s[8:9] offset:7168
	global_load_b128 v[40:43], v[40:41], off
	global_load_b128 v[20:23], v144, s[8:9] offset:17920
	global_load_b128 v[44:47], v[44:45], off
	s_load_b128 s[4:7], s[6:7], 0x0
	s_mov_b32 s2, 0xe8584caa
	s_mov_b32 s3, 0x3febb67a
	s_wait_alu 0xfffe
	s_mov_b32 s12, s2
	v_cmp_gt_u16_e32 vcc_lo, 0xc0, v60
	s_wait_loadcnt 0x7
	v_mul_f64_e32 v[48:49], v[26:27], v[14:15]
	v_mul_f64_e32 v[50:51], v[24:25], v[14:15]
	s_wait_loadcnt 0x6
	v_mul_f64_e32 v[52:53], v[30:31], v[6:7]
	v_mul_f64_e32 v[54:55], v[28:29], v[6:7]
	;; [unrolled: 3-line block ×6, first 2 shown]
	v_fma_f64 v[24:25], v[24:25], v[12:13], v[48:49]
	v_fma_f64 v[26:27], v[26:27], v[12:13], -v[50:51]
	v_fma_f64 v[28:29], v[28:29], v[4:5], v[52:53]
	v_fma_f64 v[30:31], v[30:31], v[4:5], -v[54:55]
	;; [unrolled: 2-line block ×3, first 2 shown]
	v_and_b32_e32 v58, 1, v143
	v_and_b32_e32 v59, 3, v143
	v_fma_f64 v[36:37], v[36:37], v[0:1], v[61:62]
	v_fma_f64 v[38:39], v[38:39], v[0:1], -v[63:64]
	v_fma_f64 v[40:41], v[40:41], v[16:17], v[65:66]
	v_fma_f64 v[42:43], v[42:43], v[16:17], -v[67:68]
	;; [unrolled: 2-line block ×3, first 2 shown]
	v_add_nc_u32_e32 v61, 0xe0, v143
	v_and_b32_e32 v70, 7, v143
	ds_store_b128 v144, v[24:27]
	ds_store_b128 v144, v[32:35] offset:3584
	ds_store_b128 v144, v[28:31] offset:10752
	;; [unrolled: 1-line block ×5, first 2 shown]
	global_wb scope:SCOPE_SE
	s_wait_dscnt 0x0
	s_wait_kmcnt 0x0
	s_barrier_signal -1
	s_barrier_wait -1
	global_inv scope:SCOPE_SE
	ds_load_b128 v[24:27], v144 offset:10752
	ds_load_b128 v[28:31], v144
	ds_load_b128 v[32:35], v144 offset:3584
	ds_load_b128 v[36:39], v144 offset:14336
	;; [unrolled: 1-line block ×4, first 2 shown]
	v_lshlrev_b32_e32 v146, 5, v61
	global_wb scope:SCOPE_SE
	s_wait_dscnt 0x0
	s_barrier_signal -1
	s_barrier_wait -1
	global_inv scope:SCOPE_SE
	v_and_b32_e32 v109, 63, v61
	v_add_f64_e64 v[24:25], v[28:29], -v[24:25]
	v_add_f64_e64 v[26:27], v[30:31], -v[26:27]
	;; [unrolled: 1-line block ×5, first 2 shown]
	v_lshlrev_b32_e32 v44, 1, v143
	v_add_f64_e64 v[50:51], v[42:43], -v[46:47]
	v_lshlrev_b32_e32 v47, 4, v58
	s_delay_alu instid0(VALU_DEP_3) | instskip(SKIP_1) | instid1(VALU_DEP_2)
	v_add_nc_u32_e32 v45, 0x380, v44
	v_lshlrev_b32_e32 v46, 4, v44
	v_lshlrev_b32_e32 v145, 4, v45
	v_fma_f64 v[28:29], v[28:29], 2.0, -v[24:25]
	v_fma_f64 v[30:31], v[30:31], 2.0, -v[26:27]
	;; [unrolled: 1-line block ×6, first 2 shown]
	ds_store_b128 v147, v[28:31]
	ds_store_b128 v147, v[24:27] offset:16
	ds_store_b128 v147, v[32:35] offset:7168
	;; [unrolled: 1-line block ×5, first 2 shown]
	global_wb scope:SCOPE_SE
	s_wait_dscnt 0x0
	s_barrier_signal -1
	s_barrier_wait -1
	global_inv scope:SCOPE_SE
	global_load_b128 v[24:27], v47, s[10:11]
	ds_load_b128 v[28:31], v144 offset:10752
	ds_load_b128 v[32:35], v144 offset:14336
	ds_load_b128 v[36:39], v144 offset:17920
	ds_load_b128 v[40:43], v144 offset:7168
	s_wait_loadcnt_dscnt 0x3
	v_mul_f64_e32 v[46:47], v[30:31], v[26:27]
	v_mul_f64_e32 v[48:49], v[28:29], v[26:27]
	s_wait_dscnt 0x2
	v_mul_f64_e32 v[50:51], v[34:35], v[26:27]
	v_mul_f64_e32 v[52:53], v[32:33], v[26:27]
	s_wait_dscnt 0x1
	v_mul_f64_e32 v[54:55], v[38:39], v[26:27]
	v_mul_f64_e32 v[56:57], v[36:37], v[26:27]
	v_fma_f64 v[46:47], v[28:29], v[24:25], -v[46:47]
	v_fma_f64 v[48:49], v[30:31], v[24:25], v[48:49]
	v_fma_f64 v[50:51], v[32:33], v[24:25], -v[50:51]
	v_fma_f64 v[52:53], v[34:35], v[24:25], v[52:53]
	v_fma_f64 v[54:55], v[36:37], v[24:25], -v[54:55]
	v_fma_f64 v[56:57], v[38:39], v[24:25], v[56:57]
	ds_load_b128 v[28:31], v144
	ds_load_b128 v[32:35], v144 offset:3584
	global_wb scope:SCOPE_SE
	s_wait_dscnt 0x0
	s_barrier_signal -1
	s_barrier_wait -1
	global_inv scope:SCOPE_SE
	v_add_f64_e64 v[36:37], v[28:29], -v[46:47]
	v_add_f64_e64 v[38:39], v[30:31], -v[48:49]
	;; [unrolled: 1-line block ×6, first 2 shown]
	v_lshlrev_b32_e32 v46, 1, v61
	v_and_or_b32 v55, 0x1fc, v44, v58
	v_and_or_b32 v57, 0x7fc, v45, v58
	v_lshrrev_b32_e32 v61, 6, v61
	s_delay_alu instid0(VALU_DEP_4)
	v_and_or_b32 v56, 0x3fc, v46, v58
	v_lshlrev_b32_e32 v58, 4, v59
	v_lshlrev_b32_e32 v150, 4, v55
	;; [unrolled: 1-line block ×3, first 2 shown]
	v_mul_u32_u24_e32 v61, 0xc0, v61
	v_lshlrev_b32_e32 v149, 4, v56
	s_delay_alu instid0(VALU_DEP_2) | instskip(NEXT) | instid1(VALU_DEP_1)
	v_or_b32_e32 v61, v61, v109
	v_lshlrev_b32_e32 v162, 4, v61
	v_fma_f64 v[28:29], v[28:29], 2.0, -v[36:37]
	v_fma_f64 v[30:31], v[30:31], 2.0, -v[38:39]
	;; [unrolled: 1-line block ×6, first 2 shown]
	ds_store_b128 v150, v[28:31]
	ds_store_b128 v150, v[36:39] offset:32
	ds_store_b128 v149, v[32:35]
	ds_store_b128 v149, v[47:50] offset:32
	;; [unrolled: 2-line block ×3, first 2 shown]
	global_wb scope:SCOPE_SE
	s_wait_dscnt 0x0
	s_barrier_signal -1
	s_barrier_wait -1
	global_inv scope:SCOPE_SE
	global_load_b128 v[28:31], v58, s[10:11] offset:32
	ds_load_b128 v[32:35], v144 offset:10752
	ds_load_b128 v[36:39], v144 offset:14336
	;; [unrolled: 1-line block ×4, first 2 shown]
	s_wait_loadcnt_dscnt 0x3
	v_mul_f64_e32 v[51:52], v[34:35], v[30:31]
	v_mul_f64_e32 v[53:54], v[32:33], v[30:31]
	s_wait_dscnt 0x2
	v_mul_f64_e32 v[55:56], v[38:39], v[30:31]
	v_mul_f64_e32 v[57:58], v[36:37], v[30:31]
	s_wait_dscnt 0x1
	v_mul_f64_e32 v[62:63], v[42:43], v[30:31]
	v_mul_f64_e32 v[64:65], v[40:41], v[30:31]
	v_fma_f64 v[51:52], v[32:33], v[28:29], -v[51:52]
	v_fma_f64 v[53:54], v[34:35], v[28:29], v[53:54]
	v_fma_f64 v[55:56], v[36:37], v[28:29], -v[55:56]
	v_fma_f64 v[57:58], v[38:39], v[28:29], v[57:58]
	;; [unrolled: 2-line block ×3, first 2 shown]
	ds_load_b128 v[32:35], v144
	ds_load_b128 v[36:39], v144 offset:3584
	global_wb scope:SCOPE_SE
	s_wait_dscnt 0x0
	s_barrier_signal -1
	s_barrier_wait -1
	global_inv scope:SCOPE_SE
	v_add_f64_e64 v[40:41], v[32:33], -v[51:52]
	v_add_f64_e64 v[42:43], v[34:35], -v[53:54]
	v_add_f64_e64 v[51:52], v[36:37], -v[55:56]
	v_add_f64_e64 v[53:54], v[38:39], -v[57:58]
	v_add_f64_e64 v[55:56], v[47:48], -v[62:63]
	v_add_f64_e64 v[57:58], v[49:50], -v[64:65]
	v_and_or_b32 v62, 0x1f8, v44, v59
	v_and_or_b32 v63, 0x3f8, v46, v59
	;; [unrolled: 1-line block ×3, first 2 shown]
	v_lshlrev_b32_e32 v64, 4, v70
	s_delay_alu instid0(VALU_DEP_4) | instskip(NEXT) | instid1(VALU_DEP_4)
	v_lshlrev_b32_e32 v153, 4, v62
	v_lshlrev_b32_e32 v152, 4, v63
	s_delay_alu instid0(VALU_DEP_4)
	v_lshlrev_b32_e32 v151, 4, v59
	v_and_b32_e32 v59, 15, v143
	v_fma_f64 v[32:33], v[32:33], 2.0, -v[40:41]
	v_fma_f64 v[34:35], v[34:35], 2.0, -v[42:43]
	;; [unrolled: 1-line block ×6, first 2 shown]
	ds_store_b128 v153, v[32:35]
	ds_store_b128 v153, v[40:43] offset:64
	ds_store_b128 v152, v[36:39]
	ds_store_b128 v152, v[51:54] offset:64
	;; [unrolled: 2-line block ×3, first 2 shown]
	global_wb scope:SCOPE_SE
	s_wait_dscnt 0x0
	s_barrier_signal -1
	s_barrier_wait -1
	global_inv scope:SCOPE_SE
	global_load_b128 v[32:35], v64, s[10:11] offset:96
	ds_load_b128 v[36:39], v144 offset:10752
	ds_load_b128 v[40:43], v144 offset:14336
	;; [unrolled: 1-line block ×4, first 2 shown]
	s_wait_loadcnt_dscnt 0x3
	v_mul_f64_e32 v[55:56], v[38:39], v[34:35]
	v_mul_f64_e32 v[57:58], v[36:37], v[34:35]
	s_wait_dscnt 0x2
	v_mul_f64_e32 v[62:63], v[42:43], v[34:35]
	v_mul_f64_e32 v[64:65], v[40:41], v[34:35]
	s_wait_dscnt 0x1
	v_mul_f64_e32 v[66:67], v[49:50], v[34:35]
	v_mul_f64_e32 v[68:69], v[47:48], v[34:35]
	v_fma_f64 v[55:56], v[36:37], v[32:33], -v[55:56]
	v_fma_f64 v[57:58], v[38:39], v[32:33], v[57:58]
	v_fma_f64 v[62:63], v[40:41], v[32:33], -v[62:63]
	v_fma_f64 v[64:65], v[42:43], v[32:33], v[64:65]
	;; [unrolled: 2-line block ×3, first 2 shown]
	ds_load_b128 v[36:39], v144
	ds_load_b128 v[40:43], v144 offset:3584
	global_wb scope:SCOPE_SE
	s_wait_dscnt 0x0
	s_barrier_signal -1
	s_barrier_wait -1
	global_inv scope:SCOPE_SE
	v_add_f64_e64 v[47:48], v[36:37], -v[55:56]
	v_add_f64_e64 v[49:50], v[38:39], -v[57:58]
	;; [unrolled: 1-line block ×6, first 2 shown]
	v_and_or_b32 v66, 0x1f0, v44, v70
	v_and_or_b32 v67, 0x3f0, v46, v70
	;; [unrolled: 1-line block ×3, first 2 shown]
	v_lshlrev_b32_e32 v69, 4, v59
	s_delay_alu instid0(VALU_DEP_4) | instskip(NEXT) | instid1(VALU_DEP_4)
	v_lshlrev_b32_e32 v156, 4, v66
	v_lshlrev_b32_e32 v155, 4, v67
	s_delay_alu instid0(VALU_DEP_4)
	v_lshlrev_b32_e32 v154, 4, v68
	v_fma_f64 v[36:37], v[36:37], 2.0, -v[47:48]
	v_fma_f64 v[38:39], v[38:39], 2.0, -v[49:50]
	;; [unrolled: 1-line block ×6, first 2 shown]
	ds_store_b128 v156, v[36:39]
	ds_store_b128 v156, v[47:50] offset:128
	ds_store_b128 v155, v[40:43]
	ds_store_b128 v155, v[55:58] offset:128
	;; [unrolled: 2-line block ×3, first 2 shown]
	global_wb scope:SCOPE_SE
	s_wait_dscnt 0x0
	s_barrier_signal -1
	s_barrier_wait -1
	global_inv scope:SCOPE_SE
	global_load_b128 v[36:39], v69, s[10:11] offset:224
	ds_load_b128 v[40:43], v144 offset:10752
	ds_load_b128 v[47:50], v144 offset:14336
	;; [unrolled: 1-line block ×4, first 2 shown]
	s_wait_loadcnt_dscnt 0x3
	v_mul_f64_e32 v[62:63], v[42:43], v[38:39]
	v_mul_f64_e32 v[64:65], v[40:41], v[38:39]
	s_wait_dscnt 0x2
	v_mul_f64_e32 v[66:67], v[49:50], v[38:39]
	v_mul_f64_e32 v[68:69], v[47:48], v[38:39]
	s_wait_dscnt 0x1
	v_mul_f64_e32 v[70:71], v[53:54], v[38:39]
	v_mul_f64_e32 v[72:73], v[51:52], v[38:39]
	v_fma_f64 v[62:63], v[40:41], v[36:37], -v[62:63]
	v_fma_f64 v[64:65], v[42:43], v[36:37], v[64:65]
	v_fma_f64 v[66:67], v[47:48], v[36:37], -v[66:67]
	v_fma_f64 v[68:69], v[49:50], v[36:37], v[68:69]
	;; [unrolled: 2-line block ×3, first 2 shown]
	ds_load_b128 v[40:43], v144
	ds_load_b128 v[47:50], v144 offset:3584
	global_wb scope:SCOPE_SE
	s_wait_dscnt 0x0
	s_barrier_signal -1
	s_barrier_wait -1
	global_inv scope:SCOPE_SE
	v_add_f64_e64 v[51:52], v[40:41], -v[62:63]
	v_add_f64_e64 v[53:54], v[42:43], -v[64:65]
	;; [unrolled: 1-line block ×6, first 2 shown]
	v_and_or_b32 v70, 0x1e0, v44, v59
	v_and_or_b32 v71, 0x3e0, v46, v59
	;; [unrolled: 1-line block ×3, first 2 shown]
	v_lshlrev_b32_e32 v72, 4, v78
	v_and_or_b32 v44, 0x1c0, v44, v78
	v_lshlrev_b32_e32 v159, 4, v70
	v_lshlrev_b32_e32 v158, 4, v71
	;; [unrolled: 1-line block ×3, first 2 shown]
	v_and_or_b32 v46, 0x3c0, v46, v78
	v_and_or_b32 v45, 0x7c0, v45, v78
	v_lshlrev_b32_e32 v59, 5, v108
	v_lshlrev_b32_e32 v163, 4, v44
	s_delay_alu instid0(VALU_DEP_4) | instskip(NEXT) | instid1(VALU_DEP_4)
	v_lshlrev_b32_e32 v161, 4, v46
	v_lshlrev_b32_e32 v160, 4, v45
	v_fma_f64 v[40:41], v[40:41], 2.0, -v[51:52]
	v_fma_f64 v[42:43], v[42:43], 2.0, -v[53:54]
	;; [unrolled: 1-line block ×6, first 2 shown]
	ds_store_b128 v159, v[40:43]
	ds_store_b128 v159, v[51:54] offset:256
	ds_store_b128 v158, v[47:50]
	ds_store_b128 v158, v[62:65] offset:256
	;; [unrolled: 2-line block ×3, first 2 shown]
	global_wb scope:SCOPE_SE
	s_wait_dscnt 0x0
	s_barrier_signal -1
	s_barrier_wait -1
	global_inv scope:SCOPE_SE
	global_load_b128 v[40:43], v72, s[10:11] offset:480
	ds_load_b128 v[47:50], v144 offset:10752
	ds_load_b128 v[51:54], v144 offset:14336
	;; [unrolled: 1-line block ×4, first 2 shown]
	s_wait_loadcnt_dscnt 0x3
	v_mul_f64_e32 v[66:67], v[49:50], v[42:43]
	v_mul_f64_e32 v[68:69], v[47:48], v[42:43]
	s_wait_dscnt 0x2
	v_mul_f64_e32 v[70:71], v[53:54], v[42:43]
	v_mul_f64_e32 v[72:73], v[51:52], v[42:43]
	s_wait_dscnt 0x1
	v_mul_f64_e32 v[74:75], v[57:58], v[42:43]
	v_mul_f64_e32 v[76:77], v[55:56], v[42:43]
	v_fma_f64 v[66:67], v[47:48], v[40:41], -v[66:67]
	v_fma_f64 v[68:69], v[49:50], v[40:41], v[68:69]
	v_fma_f64 v[70:71], v[51:52], v[40:41], -v[70:71]
	v_fma_f64 v[72:73], v[53:54], v[40:41], v[72:73]
	;; [unrolled: 2-line block ×3, first 2 shown]
	ds_load_b128 v[47:50], v144
	ds_load_b128 v[51:54], v144 offset:3584
	global_wb scope:SCOPE_SE
	s_wait_dscnt 0x0
	s_barrier_signal -1
	s_barrier_wait -1
	global_inv scope:SCOPE_SE
	v_add_f64_e64 v[55:56], v[47:48], -v[66:67]
	v_add_f64_e64 v[57:58], v[49:50], -v[68:69]
	;; [unrolled: 1-line block ×6, first 2 shown]
	v_lshlrev_b32_e32 v74, 5, v109
	v_fma_f64 v[47:48], v[47:48], 2.0, -v[55:56]
	v_fma_f64 v[49:50], v[49:50], 2.0, -v[57:58]
	;; [unrolled: 1-line block ×6, first 2 shown]
	ds_store_b128 v163, v[47:50]
	ds_store_b128 v163, v[55:58] offset:512
	ds_store_b128 v161, v[51:54]
	ds_store_b128 v161, v[66:69] offset:512
	;; [unrolled: 2-line block ×3, first 2 shown]
	global_wb scope:SCOPE_SE
	s_wait_dscnt 0x0
	s_barrier_signal -1
	s_barrier_wait -1
	global_inv scope:SCOPE_SE
	s_clause 0x3
	global_load_b128 v[48:51], v59, s[10:11] offset:992
	global_load_b128 v[44:47], v59, s[10:11] offset:1008
	;; [unrolled: 1-line block ×4, first 2 shown]
	ds_load_b128 v[62:65], v144 offset:7168
	ds_load_b128 v[66:69], v144 offset:14336
	;; [unrolled: 1-line block ×4, first 2 shown]
	s_wait_loadcnt_dscnt 0x303
	v_mul_f64_e32 v[78:79], v[64:65], v[50:51]
	s_wait_loadcnt_dscnt 0x202
	v_mul_f64_e32 v[80:81], v[68:69], v[46:47]
	v_mul_f64_e32 v[82:83], v[62:63], v[50:51]
	;; [unrolled: 1-line block ×3, first 2 shown]
	s_wait_loadcnt_dscnt 0x101
	v_mul_f64_e32 v[86:87], v[72:73], v[58:59]
	s_wait_loadcnt_dscnt 0x0
	v_mul_f64_e32 v[88:89], v[76:77], v[54:55]
	v_mul_f64_e32 v[90:91], v[70:71], v[58:59]
	;; [unrolled: 1-line block ×3, first 2 shown]
	v_fma_f64 v[78:79], v[62:63], v[48:49], -v[78:79]
	v_fma_f64 v[80:81], v[66:67], v[44:45], -v[80:81]
	v_fma_f64 v[82:83], v[64:65], v[48:49], v[82:83]
	v_fma_f64 v[84:85], v[68:69], v[44:45], v[84:85]
	v_fma_f64 v[70:71], v[70:71], v[56:57], -v[86:87]
	v_fma_f64 v[74:75], v[74:75], v[52:53], -v[88:89]
	v_fma_f64 v[72:73], v[72:73], v[56:57], v[90:91]
	v_fma_f64 v[76:77], v[76:77], v[52:53], v[92:93]
	ds_load_b128 v[62:65], v144
	ds_load_b128 v[66:69], v144 offset:3584
	global_wb scope:SCOPE_SE
	s_wait_dscnt 0x0
	s_barrier_signal -1
	s_barrier_wait -1
	global_inv scope:SCOPE_SE
	v_add_f64_e32 v[94:95], v[62:63], v[78:79]
	v_add_f64_e32 v[86:87], v[78:79], v[80:81]
	;; [unrolled: 1-line block ×8, first 2 shown]
	v_add_f64_e64 v[82:83], v[82:83], -v[84:85]
	v_add_f64_e64 v[78:79], v[78:79], -v[80:81]
	;; [unrolled: 1-line block ×4, first 2 shown]
	v_fma_f64 v[62:63], v[86:87], -0.5, v[62:63]
	v_add_f64_e32 v[86:87], v[96:97], v[84:85]
	v_fma_f64 v[64:65], v[88:89], -0.5, v[64:65]
	v_add_f64_e32 v[84:85], v[94:95], v[80:81]
	;; [unrolled: 2-line block ×4, first 2 shown]
	v_fma_f64 v[88:89], v[82:83], s[2:3], v[62:63]
	s_wait_alu 0xfffe
	v_fma_f64 v[92:93], v[82:83], s[12:13], v[62:63]
	v_fma_f64 v[90:91], v[78:79], s[12:13], v[64:65]
	;; [unrolled: 1-line block ×7, first 2 shown]
	v_lshrrev_b32_e32 v62, 6, v143
	s_load_b64 s[2:3], s[0:1], 0x38
	v_add_co_u32 v113, s0, s8, v144
	s_wait_alu 0xf1ff
	v_add_co_ci_u32_e64 v114, null, s9, 0, s0
	v_mul_u32_u24_e32 v62, 0xc0, v62
	s_delay_alu instid0(VALU_DEP_1) | instskip(NEXT) | instid1(VALU_DEP_1)
	v_or_b32_e32 v60, v62, v108
                                        ; implicit-def: $vgpr108_vgpr109
	v_lshlrev_b32_e32 v164, 4, v60
	ds_store_b128 v164, v[84:87]
	ds_store_b128 v164, v[88:91] offset:1024
	ds_store_b128 v164, v[92:95] offset:2048
	ds_store_b128 v162, v[96:99]
	ds_store_b128 v162, v[100:103] offset:1024
	ds_store_b128 v162, v[104:107] offset:2048
	global_wb scope:SCOPE_SE
	s_wait_dscnt 0x0
	s_wait_kmcnt 0x0
	s_barrier_signal -1
	s_barrier_wait -1
	global_inv scope:SCOPE_SE
	s_and_saveexec_b32 s0, vcc_lo
	s_cbranch_execz .LBB0_3
; %bb.2:
	ds_load_b128 v[84:87], v144
	ds_load_b128 v[88:91], v144 offset:3072
	ds_load_b128 v[92:95], v144 offset:6144
	;; [unrolled: 1-line block ×6, first 2 shown]
.LBB0_3:
	s_wait_alu 0xfffe
	s_or_b32 exec_lo, exec_lo, s0
	v_add_nc_u32_e32 v60, 0xffffff40, v143
	s_mov_b32 s12, 0xaaaaaaaa
	s_mov_b32 s13, 0xbff2aaaa
	s_delay_alu instid0(VALU_DEP_1) | instskip(NEXT) | instid1(VALU_DEP_1)
	v_cndmask_b32_e32 v60, v60, v143, vcc_lo
	v_mul_i32_i24_e32 v61, 0x60, v60
	v_mul_hi_i32_i24_e32 v60, 0x60, v60
	s_delay_alu instid0(VALU_DEP_2) | instskip(SKIP_1) | instid1(VALU_DEP_2)
	v_add_co_u32 v72, s0, s10, v61
	s_wait_alu 0xf1ff
	v_add_co_ci_u32_e64 v73, s0, s11, v60, s0
	s_mov_b32 s0, 0x37e14327
	s_mov_b32 s10, 0xb247c609
	;; [unrolled: 1-line block ×3, first 2 shown]
	s_clause 0x5
	global_load_b128 v[64:67], v[72:73], off offset:3040
	global_load_b128 v[60:63], v[72:73], off offset:3056
	;; [unrolled: 1-line block ×6, first 2 shown]
	s_mov_b32 s11, 0x3fd5d0dc
	s_wait_loadcnt_dscnt 0x505
	v_mul_f64_e32 v[115:116], v[90:91], v[66:67]
	v_mul_f64_e32 v[117:118], v[88:89], v[66:67]
	s_wait_loadcnt_dscnt 0x404
	v_mul_f64_e32 v[119:120], v[94:95], v[62:63]
	v_mul_f64_e32 v[121:122], v[92:93], v[62:63]
	;; [unrolled: 3-line block ×3, first 2 shown]
	s_wait_loadcnt 0x2
	v_mul_f64_e32 v[127:128], v[106:107], v[82:83]
	v_mul_f64_e32 v[129:130], v[104:105], v[82:83]
	s_wait_loadcnt 0x1
	v_mul_f64_e32 v[131:132], v[98:99], v[78:79]
	v_mul_f64_e32 v[133:134], v[96:97], v[78:79]
	;; [unrolled: 3-line block ×3, first 2 shown]
	v_fma_f64 v[88:89], v[88:89], v[64:65], -v[115:116]
	v_fma_f64 v[90:91], v[90:91], v[64:65], v[117:118]
	v_fma_f64 v[115:116], v[92:93], v[60:61], -v[119:120]
	v_fma_f64 v[117:118], v[94:95], v[60:61], v[121:122]
	;; [unrolled: 2-line block ×6, first 2 shown]
	v_add_f64_e32 v[92:93], v[88:89], v[94:95]
	v_add_f64_e32 v[98:99], v[90:91], v[108:109]
	;; [unrolled: 1-line block ×4, first 2 shown]
	v_add_f64_e64 v[104:105], v[88:89], -v[94:95]
	v_add_f64_e64 v[94:95], v[90:91], -v[108:109]
	v_add_f64_e32 v[88:89], v[119:120], v[100:101]
	v_add_f64_e32 v[90:91], v[121:122], v[123:124]
	v_add_f64_e64 v[108:109], v[100:101], -v[119:120]
	v_add_f64_e64 v[119:120], v[123:124], -v[121:122]
	;; [unrolled: 1-line block ×4, first 2 shown]
	v_add_f64_e32 v[121:122], v[96:97], v[92:93]
	v_add_f64_e32 v[123:124], v[102:103], v[98:99]
	v_add_f64_e64 v[106:107], v[92:93], -v[88:89]
	v_add_f64_e64 v[110:111], v[98:99], -v[90:91]
	v_add_f64_e64 v[117:118], v[104:105], -v[108:109]
	v_add_f64_e64 v[127:128], v[94:95], -v[119:120]
	v_add_f64_e64 v[125:126], v[90:91], -v[102:103]
	v_add_f64_e32 v[139:140], v[108:109], v[115:116]
	v_add_f64_e32 v[141:142], v[119:120], v[100:101]
	v_add_f64_e64 v[131:132], v[108:109], -v[115:116]
	v_add_f64_e64 v[129:130], v[119:120], -v[100:101]
	v_add_f64_e32 v[133:134], v[88:89], v[121:122]
	v_add_f64_e32 v[165:166], v[90:91], v[123:124]
	v_add_f64_e64 v[123:124], v[88:89], -v[96:97]
	s_wait_alu 0xf1fe
	v_mul_f64_e32 v[119:120], s[0:1], v[106:107]
	v_mul_f64_e32 v[121:122], s[0:1], v[110:111]
	;; [unrolled: 1-line block ×4, first 2 shown]
	s_mov_b32 s0, 0x36b3c0b5
	s_mov_b32 s10, 0xe976ee23
	;; [unrolled: 1-line block ×4, first 2 shown]
	v_add_f64_e32 v[139:140], v[139:140], v[104:105]
	v_add_f64_e32 v[141:142], v[141:142], v[94:95]
	;; [unrolled: 1-line block ×4, first 2 shown]
	s_wait_alu 0xfffe
	v_fma_f64 v[84:85], v[123:124], s[0:1], v[119:120]
	v_fma_f64 v[86:87], v[125:126], s[0:1], v[121:122]
	;; [unrolled: 1-line block ×6, first 2 shown]
	s_mov_b32 s12, 0x37c3f68c
	s_mov_b32 s13, 0x3fdc38aa
	s_wait_alu 0xfffe
	s_delay_alu instid0(VALU_DEP_4) | instskip(NEXT) | instid1(VALU_DEP_4)
	v_fma_f64 v[110:111], v[139:140], s[12:13], v[106:107]
	v_fma_f64 v[106:107], v[141:142], s[12:13], v[108:109]
	s_delay_alu instid0(VALU_DEP_4) | instskip(NEXT) | instid1(VALU_DEP_4)
	v_add_f64_e32 v[108:109], v[84:85], v[127:128]
	v_add_f64_e32 v[117:118], v[86:87], v[133:134]
	s_delay_alu instid0(VALU_DEP_2) | instskip(NEXT) | instid1(VALU_DEP_2)
	v_add_f64_e64 v[84:85], v[108:109], -v[106:107]
	v_add_f64_e32 v[86:87], v[110:111], v[117:118]
	s_and_saveexec_b32 s14, vcc_lo
	s_cbranch_execz .LBB0_5
; %bb.4:
	v_add_f64_e64 v[104:105], v[115:116], -v[104:105]
	v_add_f64_e64 v[98:99], v[102:103], -v[98:99]
	;; [unrolled: 1-line block ×4, first 2 shown]
	v_mul_f64_e32 v[96:97], s[0:1], v[125:126]
	v_mul_f64_e32 v[100:101], s[10:11], v[131:132]
	;; [unrolled: 1-line block ×4, first 2 shown]
	s_mov_b32 s1, 0xbfebfeb5
	s_mov_b32 s0, 0x429ad128
	;; [unrolled: 1-line block ×4, first 2 shown]
	v_mul_f64_e32 v[123:124], s[12:13], v[139:140]
	v_mul_f64_e32 v[125:126], s[12:13], v[141:142]
	s_wait_alu 0xfffe
	v_fma_f64 v[129:130], v[104:105], s[0:1], -v[137:138]
	v_fma_f64 v[121:122], v[98:99], s[10:11], -v[121:122]
	;; [unrolled: 1-line block ×4, first 2 shown]
	s_mov_b32 s11, 0x3fe77f67
	s_mov_b32 s1, 0x3febfeb5
	s_wait_alu 0xfffe
	v_fma_f64 v[96:97], v[98:99], s[10:11], -v[96:97]
	v_fma_f64 v[98:99], v[104:105], s[0:1], -v[100:101]
	;; [unrolled: 1-line block ×4, first 2 shown]
	v_add_f64_e32 v[100:101], v[123:124], v[129:130]
	v_add_f64_e32 v[102:103], v[121:122], v[133:134]
	;; [unrolled: 1-line block ×8, first 2 shown]
	v_add_f64_e64 v[94:95], v[117:118], -v[110:111]
	v_add_f64_e32 v[92:93], v[106:107], v[108:109]
	v_add_f64_e32 v[98:99], v[100:101], v[102:103]
	v_add_f64_e64 v[102:103], v[102:103], -v[100:101]
	v_add_f64_e32 v[100:101], v[119:120], v[115:116]
	v_add_f64_e32 v[110:111], v[104:105], v[96:97]
	v_add_f64_e64 v[106:107], v[96:97], -v[104:105]
	v_add_f64_e64 v[108:109], v[121:122], -v[123:124]
	v_add_f64_e32 v[104:105], v[123:124], v[121:122]
	v_add_f64_e64 v[96:97], v[115:116], -v[119:120]
	ds_store_b128 v144, v[88:91]
	ds_store_b128 v144, v[92:95] offset:3072
	ds_store_b128 v144, v[100:103] offset:6144
	;; [unrolled: 1-line block ×6, first 2 shown]
.LBB0_5:
	s_wait_alu 0xfffe
	s_or_b32 exec_lo, exec_lo, s14
	s_add_nc_u64 s[0:1], s[8:9], 0x5400
	global_wb scope:SCOPE_SE
	s_wait_dscnt 0x0
	s_barrier_signal -1
	s_barrier_wait -1
	global_inv scope:SCOPE_SE
	s_clause 0x5
	global_load_b128 v[88:91], v[113:114], off offset:21504
	global_load_b128 v[92:95], v144, s[0:1] offset:10752
	global_load_b128 v[96:99], v144, s[0:1] offset:3584
	;; [unrolled: 1-line block ×5, first 2 shown]
	ds_load_b128 v[113:116], v144
	ds_load_b128 v[117:120], v144 offset:10752
	ds_load_b128 v[121:124], v144 offset:3584
	;; [unrolled: 1-line block ×5, first 2 shown]
	s_mov_b32 s0, 0xe8584caa
	s_mov_b32 s1, 0xbfebb67a
	;; [unrolled: 1-line block ×3, first 2 shown]
	s_wait_alu 0xfffe
	s_mov_b32 s8, s0
	s_wait_loadcnt_dscnt 0x505
	v_mul_f64_e32 v[137:138], v[115:116], v[90:91]
	v_mul_f64_e32 v[90:91], v[113:114], v[90:91]
	s_wait_loadcnt_dscnt 0x404
	v_mul_f64_e32 v[139:140], v[119:120], v[94:95]
	v_mul_f64_e32 v[94:95], v[117:118], v[94:95]
	;; [unrolled: 3-line block ×6, first 2 shown]
	v_fma_f64 v[113:114], v[113:114], v[88:89], -v[137:138]
	v_fma_f64 v[115:116], v[115:116], v[88:89], v[90:91]
	v_fma_f64 v[88:89], v[117:118], v[92:93], -v[139:140]
	v_fma_f64 v[90:91], v[119:120], v[92:93], v[94:95]
	;; [unrolled: 2-line block ×6, first 2 shown]
	ds_store_b128 v144, v[113:116]
	ds_store_b128 v144, v[92:95] offset:3584
	ds_store_b128 v144, v[88:91] offset:10752
	;; [unrolled: 1-line block ×5, first 2 shown]
	global_wb scope:SCOPE_SE
	s_wait_dscnt 0x0
	s_barrier_signal -1
	s_barrier_wait -1
	global_inv scope:SCOPE_SE
	ds_load_b128 v[88:91], v144 offset:10752
	ds_load_b128 v[92:95], v144
	ds_load_b128 v[96:99], v144 offset:3584
	ds_load_b128 v[100:103], v144 offset:14336
	;; [unrolled: 1-line block ×4, first 2 shown]
	global_wb scope:SCOPE_SE
	s_wait_dscnt 0x0
	s_barrier_signal -1
	s_barrier_wait -1
	global_inv scope:SCOPE_SE
	v_add_f64_e64 v[88:89], v[92:93], -v[88:89]
	v_add_f64_e64 v[90:91], v[94:95], -v[90:91]
	v_add_f64_e64 v[100:101], v[96:97], -v[100:101]
	v_add_f64_e64 v[102:103], v[98:99], -v[102:103]
	v_add_f64_e64 v[108:109], v[104:105], -v[108:109]
	v_add_f64_e64 v[110:111], v[106:107], -v[110:111]
	v_fma_f64 v[92:93], v[92:93], 2.0, -v[88:89]
	v_fma_f64 v[94:95], v[94:95], 2.0, -v[90:91]
	v_fma_f64 v[96:97], v[96:97], 2.0, -v[100:101]
	v_fma_f64 v[98:99], v[98:99], 2.0, -v[102:103]
	v_fma_f64 v[104:105], v[104:105], 2.0, -v[108:109]
	v_fma_f64 v[106:107], v[106:107], 2.0, -v[110:111]
	ds_store_b128 v147, v[88:91] offset:16
	ds_store_b128 v147, v[92:95]
	ds_store_b128 v146, v[96:99]
	ds_store_b128 v146, v[100:103] offset:16
	ds_store_b128 v145, v[104:107]
	ds_store_b128 v145, v[108:111] offset:16
	global_wb scope:SCOPE_SE
	s_wait_dscnt 0x0
	s_barrier_signal -1
	s_barrier_wait -1
	global_inv scope:SCOPE_SE
	ds_load_b128 v[88:91], v144 offset:10752
	ds_load_b128 v[92:95], v144 offset:14336
	ds_load_b128 v[96:99], v144 offset:17920
	s_wait_dscnt 0x2
	v_mul_f64_e32 v[100:101], v[26:27], v[90:91]
	v_mul_f64_e32 v[102:103], v[26:27], v[88:89]
	s_wait_dscnt 0x1
	v_mul_f64_e32 v[104:105], v[26:27], v[94:95]
	v_mul_f64_e32 v[106:107], v[26:27], v[92:93]
	s_wait_dscnt 0x0
	v_mul_f64_e32 v[108:109], v[26:27], v[98:99]
	v_mul_f64_e32 v[26:27], v[26:27], v[96:97]
	v_fma_f64 v[100:101], v[24:25], v[88:89], v[100:101]
	v_fma_f64 v[102:103], v[24:25], v[90:91], -v[102:103]
	v_fma_f64 v[104:105], v[24:25], v[92:93], v[104:105]
	v_fma_f64 v[106:107], v[24:25], v[94:95], -v[106:107]
	v_fma_f64 v[108:109], v[24:25], v[96:97], v[108:109]
	v_fma_f64 v[110:111], v[24:25], v[98:99], -v[26:27]
	ds_load_b128 v[24:27], v144
	ds_load_b128 v[88:91], v144 offset:3584
	ds_load_b128 v[92:95], v144 offset:7168
	global_wb scope:SCOPE_SE
	s_wait_dscnt 0x0
	s_barrier_signal -1
	s_barrier_wait -1
	global_inv scope:SCOPE_SE
	v_add_f64_e64 v[96:97], v[24:25], -v[100:101]
	v_add_f64_e64 v[98:99], v[26:27], -v[102:103]
	v_add_f64_e64 v[100:101], v[88:89], -v[104:105]
	v_add_f64_e64 v[102:103], v[90:91], -v[106:107]
	v_add_f64_e64 v[104:105], v[92:93], -v[108:109]
	v_add_f64_e64 v[106:107], v[94:95], -v[110:111]
	v_fma_f64 v[24:25], v[24:25], 2.0, -v[96:97]
	v_fma_f64 v[26:27], v[26:27], 2.0, -v[98:99]
	v_fma_f64 v[88:89], v[88:89], 2.0, -v[100:101]
	v_fma_f64 v[90:91], v[90:91], 2.0, -v[102:103]
	v_fma_f64 v[92:93], v[92:93], 2.0, -v[104:105]
	v_fma_f64 v[94:95], v[94:95], 2.0, -v[106:107]
	ds_store_b128 v150, v[96:99] offset:32
	ds_store_b128 v150, v[24:27]
	ds_store_b128 v149, v[88:91]
	ds_store_b128 v149, v[100:103] offset:32
	ds_store_b128 v148, v[92:95]
	ds_store_b128 v148, v[104:107] offset:32
	global_wb scope:SCOPE_SE
	s_wait_dscnt 0x0
	s_barrier_signal -1
	s_barrier_wait -1
	global_inv scope:SCOPE_SE
	ds_load_b128 v[24:27], v144 offset:10752
	ds_load_b128 v[88:91], v144 offset:14336
	ds_load_b128 v[92:95], v144 offset:17920
	s_wait_dscnt 0x2
	v_mul_f64_e32 v[96:97], v[30:31], v[26:27]
	v_mul_f64_e32 v[98:99], v[30:31], v[24:25]
	s_wait_dscnt 0x1
	v_mul_f64_e32 v[100:101], v[30:31], v[90:91]
	v_mul_f64_e32 v[102:103], v[30:31], v[88:89]
	s_wait_dscnt 0x0
	v_mul_f64_e32 v[104:105], v[30:31], v[94:95]
	v_mul_f64_e32 v[30:31], v[30:31], v[92:93]
	v_fma_f64 v[96:97], v[28:29], v[24:25], v[96:97]
	v_fma_f64 v[98:99], v[28:29], v[26:27], -v[98:99]
	v_fma_f64 v[100:101], v[28:29], v[88:89], v[100:101]
	v_fma_f64 v[102:103], v[28:29], v[90:91], -v[102:103]
	v_fma_f64 v[104:105], v[28:29], v[92:93], v[104:105]
	v_fma_f64 v[106:107], v[28:29], v[94:95], -v[30:31]
	ds_load_b128 v[24:27], v144
	ds_load_b128 v[28:31], v144 offset:3584
	ds_load_b128 v[88:91], v144 offset:7168
	;; [unrolled: 49-line block ×5, first 2 shown]
	global_wb scope:SCOPE_SE
	s_wait_dscnt 0x0
	s_barrier_signal -1
	s_barrier_wait -1
	global_inv scope:SCOPE_SE
	v_add_f64_e64 v[36:37], v[24:25], -v[36:37]
	v_add_f64_e64 v[38:39], v[26:27], -v[38:39]
	;; [unrolled: 1-line block ×6, first 2 shown]
	v_fma_f64 v[24:25], v[24:25], 2.0, -v[36:37]
	v_fma_f64 v[26:27], v[26:27], 2.0, -v[38:39]
	;; [unrolled: 1-line block ×6, first 2 shown]
	ds_store_b128 v163, v[36:39] offset:512
	ds_store_b128 v163, v[24:27]
	ds_store_b128 v161, v[28:31]
	ds_store_b128 v161, v[40:43] offset:512
	ds_store_b128 v160, v[32:35]
	ds_store_b128 v160, v[88:91] offset:512
	global_wb scope:SCOPE_SE
	s_wait_dscnt 0x0
	s_barrier_signal -1
	s_barrier_wait -1
	global_inv scope:SCOPE_SE
	ds_load_b128 v[24:27], v144 offset:7168
	ds_load_b128 v[28:31], v144 offset:14336
	;; [unrolled: 1-line block ×4, first 2 shown]
	s_wait_dscnt 0x3
	v_mul_f64_e32 v[40:41], v[50:51], v[26:27]
	s_wait_dscnt 0x2
	v_mul_f64_e32 v[42:43], v[46:47], v[30:31]
	v_mul_f64_e32 v[50:51], v[50:51], v[24:25]
	;; [unrolled: 1-line block ×3, first 2 shown]
	s_wait_dscnt 0x1
	v_mul_f64_e32 v[88:89], v[58:59], v[34:35]
	s_wait_dscnt 0x0
	v_mul_f64_e32 v[90:91], v[54:55], v[38:39]
	v_mul_f64_e32 v[58:59], v[58:59], v[32:33]
	;; [unrolled: 1-line block ×3, first 2 shown]
	v_fma_f64 v[40:41], v[48:49], v[24:25], v[40:41]
	v_fma_f64 v[42:43], v[44:45], v[28:29], v[42:43]
	v_fma_f64 v[48:49], v[48:49], v[26:27], -v[50:51]
	v_fma_f64 v[44:45], v[44:45], v[30:31], -v[46:47]
	v_fma_f64 v[32:33], v[56:57], v[32:33], v[88:89]
	v_fma_f64 v[36:37], v[52:53], v[36:37], v[90:91]
	v_fma_f64 v[34:35], v[56:57], v[34:35], -v[58:59]
	v_fma_f64 v[38:39], v[52:53], v[38:39], -v[54:55]
	ds_load_b128 v[24:27], v144
	ds_load_b128 v[28:31], v144 offset:3584
	global_wb scope:SCOPE_SE
	s_wait_dscnt 0x0
	s_barrier_signal -1
	s_barrier_wait -1
	global_inv scope:SCOPE_SE
	v_add_f64_e32 v[56:57], v[24:25], v[40:41]
	v_add_f64_e32 v[46:47], v[40:41], v[42:43]
	v_add_f64_e64 v[40:41], v[40:41], -v[42:43]
	v_add_f64_e32 v[50:51], v[48:49], v[44:45]
	v_add_f64_e64 v[58:59], v[48:49], -v[44:45]
	v_add_f64_e32 v[52:53], v[32:33], v[36:37]
	v_add_f64_e32 v[48:49], v[26:27], v[48:49]
	;; [unrolled: 1-line block ×5, first 2 shown]
	v_add_f64_e64 v[92:93], v[34:35], -v[38:39]
	v_add_f64_e64 v[94:95], v[32:33], -v[36:37]
	v_fma_f64 v[46:47], v[46:47], -0.5, v[24:25]
	v_add_f64_e32 v[24:25], v[56:57], v[42:43]
	v_fma_f64 v[50:51], v[50:51], -0.5, v[26:27]
	v_fma_f64 v[52:53], v[52:53], -0.5, v[28:29]
	v_add_f64_e32 v[26:27], v[48:49], v[44:45]
	v_fma_f64 v[54:55], v[54:55], -0.5, v[30:31]
	v_add_f64_e32 v[36:37], v[88:89], v[36:37]
	v_add_f64_e32 v[38:39], v[90:91], v[38:39]
	v_fma_f64 v[28:29], v[58:59], s[0:1], v[46:47]
	s_wait_alu 0xfffe
	v_fma_f64 v[32:33], v[58:59], s[8:9], v[46:47]
	v_fma_f64 v[30:31], v[40:41], s[8:9], v[50:51]
	;; [unrolled: 1-line block ×7, first 2 shown]
	ds_store_b128 v164, v[24:27]
	ds_store_b128 v164, v[28:31] offset:1024
	ds_store_b128 v164, v[32:35] offset:2048
	ds_store_b128 v162, v[36:39]
	ds_store_b128 v162, v[40:43] offset:1024
	ds_store_b128 v162, v[44:47] offset:2048
	global_wb scope:SCOPE_SE
	s_wait_dscnt 0x0
	s_barrier_signal -1
	s_barrier_wait -1
	global_inv scope:SCOPE_SE
	s_and_saveexec_b32 s0, vcc_lo
	s_cbranch_execz .LBB0_7
; %bb.6:
	ds_load_b128 v[24:27], v144
	ds_load_b128 v[28:31], v144 offset:3072
	ds_load_b128 v[32:35], v144 offset:6144
	;; [unrolled: 1-line block ×6, first 2 shown]
.LBB0_7:
	s_wait_alu 0xfffe
	s_or_b32 exec_lo, exec_lo, s0
	s_and_saveexec_b32 s0, vcc_lo
	s_cbranch_execz .LBB0_9
; %bb.8:
	s_wait_dscnt 0x0
	v_mul_f64_e32 v[48:49], v[70:71], v[84:85]
	v_mul_f64_e32 v[50:51], v[66:67], v[28:29]
	v_mul_f64_e32 v[52:53], v[82:83], v[44:45]
	v_mul_f64_e32 v[54:55], v[62:63], v[32:33]
	v_mul_f64_e32 v[56:57], v[66:67], v[30:31]
	v_mul_f64_e32 v[58:59], v[70:71], v[86:87]
	v_mul_f64_e32 v[62:63], v[62:63], v[34:35]
	v_mul_f64_e32 v[66:67], v[82:83], v[46:47]
	v_mul_f64_e32 v[70:71], v[74:75], v[42:43]
	v_mul_f64_e32 v[82:83], v[78:79], v[38:39]
	v_mul_f64_e32 v[78:79], v[78:79], v[36:37]
	v_mul_f64_e32 v[74:75], v[74:75], v[40:41]
	s_mov_b32 s8, 0xe976ee23
	s_mov_b32 s9, 0x3fe11646
	;; [unrolled: 1-line block ×10, first 2 shown]
	v_fma_f64 v[48:49], v[68:69], v[86:87], -v[48:49]
	v_fma_f64 v[30:31], v[64:65], v[30:31], -v[50:51]
	;; [unrolled: 1-line block ×4, first 2 shown]
	v_fma_f64 v[28:29], v[64:65], v[28:29], v[56:57]
	v_fma_f64 v[50:51], v[68:69], v[84:85], v[58:59]
	v_fma_f64 v[32:33], v[60:61], v[32:33], v[62:63]
	v_fma_f64 v[44:45], v[80:81], v[44:45], v[66:67]
	v_fma_f64 v[40:41], v[72:73], v[40:41], v[70:71]
	v_fma_f64 v[36:37], v[76:77], v[36:37], v[82:83]
	v_fma_f64 v[38:39], v[76:77], v[38:39], -v[78:79]
	v_fma_f64 v[42:43], v[72:73], v[42:43], -v[74:75]
	v_add_f64_e32 v[52:53], v[30:31], v[48:49]
	v_add_f64_e64 v[30:31], v[30:31], -v[48:49]
	v_add_f64_e32 v[54:55], v[34:35], v[46:47]
	v_add_f64_e64 v[34:35], v[34:35], -v[46:47]
	;; [unrolled: 2-line block ×4, first 2 shown]
	v_add_f64_e64 v[60:61], v[40:41], -v[36:37]
	v_add_f64_e32 v[36:37], v[36:37], v[40:41]
	v_add_f64_e32 v[44:45], v[38:39], v[42:43]
	v_add_f64_e64 v[38:39], v[42:43], -v[38:39]
	v_add_f64_e32 v[40:41], v[54:55], v[52:53]
	v_add_f64_e64 v[66:67], v[34:35], -v[30:31]
	;; [unrolled: 2-line block ×3, first 2 shown]
	v_add_f64_e64 v[46:47], v[60:61], -v[32:33]
	v_add_f64_e64 v[62:63], v[56:57], -v[36:37]
	;; [unrolled: 1-line block ×5, first 2 shown]
	v_add_f64_e32 v[32:33], v[60:61], v[32:33]
	v_add_f64_e64 v[60:61], v[30:31], -v[38:39]
	v_add_f64_e64 v[52:53], v[54:55], -v[52:53]
	v_add_f64_e32 v[34:35], v[38:39], v[34:35]
	v_add_f64_e32 v[40:41], v[44:45], v[40:41]
	v_add_f64_e64 v[44:45], v[44:45], -v[54:55]
	v_add_f64_e64 v[54:55], v[58:59], -v[56:57]
	v_add_f64_e32 v[42:43], v[36:37], v[42:43]
	v_add_f64_e64 v[36:37], v[36:37], -v[58:59]
	s_wait_alu 0xfffe
	v_mul_f64_e32 v[46:47], s[8:9], v[46:47]
	v_mul_f64_e32 v[56:57], s[10:11], v[62:63]
	;; [unrolled: 1-line block ×4, first 2 shown]
	s_mov_b32 s8, 0x36b3c0b5
	s_mov_b32 s9, 0x3fac98ee
	v_mul_f64_e32 v[58:59], s[12:13], v[64:65]
	v_mul_f64_e32 v[62:63], s[12:13], v[66:67]
	s_mov_b32 s11, 0xbfd5d0dc
	s_mov_b32 s10, 0xb247c609
	v_add_f64_e32 v[28:29], v[32:33], v[28:29]
	v_add_f64_e32 v[30:31], v[34:35], v[30:31]
	;; [unrolled: 1-line block ×3, first 2 shown]
	s_wait_alu 0xfffe
	v_mul_f64_e32 v[38:39], s[8:9], v[44:45]
	v_add_f64_e32 v[24:25], v[24:25], v[42:43]
	v_mul_f64_e32 v[70:71], s[8:9], v[36:37]
	v_fma_f64 v[32:33], v[68:69], s[10:11], v[46:47]
	v_fma_f64 v[74:75], v[54:55], s[16:17], -v[56:57]
	v_fma_f64 v[44:45], v[44:45], s[8:9], v[48:49]
	v_fma_f64 v[72:73], v[60:61], s[10:11], v[50:51]
	s_mov_b32 s11, 0x3fd5d0dc
	v_fma_f64 v[48:49], v[52:53], s[16:17], -v[48:49]
	s_mov_b32 s17, 0x3fe77f67
	v_fma_f64 v[46:47], v[64:65], s[12:13], -v[46:47]
	s_wait_alu 0xfffe
	v_fma_f64 v[58:59], v[68:69], s[10:11], -v[58:59]
	v_fma_f64 v[36:37], v[36:37], s[8:9], v[56:57]
	s_mov_b32 s8, 0x37c3f68c
	s_mov_b32 s9, 0xbfdc38aa
	v_fma_f64 v[40:41], v[40:41], s[14:15], v[26:27]
	v_fma_f64 v[34:35], v[52:53], s[16:17], -v[38:39]
	v_fma_f64 v[38:39], v[66:67], s[12:13], -v[50:51]
	;; [unrolled: 1-line block ×3, first 2 shown]
	v_fma_f64 v[42:43], v[42:43], s[14:15], v[24:25]
	v_fma_f64 v[52:53], v[54:55], s[16:17], -v[70:71]
	s_wait_alu 0xfffe
	v_fma_f64 v[32:33], v[28:29], s[8:9], v[32:33]
	v_fma_f64 v[54:55], v[30:31], s[8:9], v[72:73]
	v_fma_f64 v[46:47], v[28:29], s[8:9], v[46:47]
	v_fma_f64 v[28:29], v[28:29], s[8:9], v[58:59]
	v_add_f64_e32 v[44:45], v[44:45], v[40:41]
	v_add_f64_e32 v[48:49], v[48:49], v[40:41]
	;; [unrolled: 1-line block ×3, first 2 shown]
	v_fma_f64 v[58:59], v[30:31], s[8:9], v[50:51]
	v_add_f64_e32 v[60:61], v[36:37], v[42:43]
	v_add_f64_e32 v[62:63], v[74:75], v[42:43]
	v_fma_f64 v[56:57], v[30:31], s[8:9], v[38:39]
	v_add_f64_e32 v[36:37], v[52:53], v[42:43]
	v_add_f64_e64 v[50:51], v[44:45], -v[32:33]
	v_add_f64_e32 v[34:35], v[28:29], v[48:49]
	v_add_f64_e64 v[38:39], v[40:41], -v[46:47]
	v_add_f64_e32 v[42:43], v[46:47], v[40:41]
	v_add_f64_e64 v[46:47], v[48:49], -v[28:29]
	v_add_f64_e32 v[48:49], v[54:55], v[60:61]
	v_add_f64_e32 v[30:31], v[32:33], v[44:45]
	;; [unrolled: 1-line block ×3, first 2 shown]
	v_add_f64_e64 v[40:41], v[36:37], -v[56:57]
	v_add_f64_e32 v[36:37], v[56:57], v[36:37]
	v_add_f64_e64 v[32:33], v[62:63], -v[58:59]
	v_add_f64_e64 v[28:29], v[60:61], -v[54:55]
	ds_store_b128 v144, v[24:27]
	ds_store_b128 v144, v[48:51] offset:3072
	ds_store_b128 v144, v[44:47] offset:6144
	;; [unrolled: 1-line block ×6, first 2 shown]
.LBB0_9:
	s_wait_alu 0xfffe
	s_or_b32 exec_lo, exec_lo, s0
	global_wb scope:SCOPE_SE
	s_wait_dscnt 0x0
	s_barrier_signal -1
	s_barrier_wait -1
	global_inv scope:SCOPE_SE
	ds_load_b128 v[24:27], v144
	ds_load_b128 v[28:31], v144 offset:10752
	ds_load_b128 v[32:35], v144 offset:3584
	;; [unrolled: 1-line block ×5, first 2 shown]
	v_mad_co_u64_u32 v[60:61], null, s6, v112, 0
	v_mad_co_u64_u32 v[62:63], null, s4, v143, 0
	s_mov_b32 s0, 0x18618618
	s_mov_b32 s1, 0x3f486186
	s_delay_alu instid0(VALU_DEP_1)
	v_mad_co_u64_u32 v[64:65], null, s7, v112, v[61:62]
	s_wait_dscnt 0x5
	v_mul_f64_e32 v[48:49], v[14:15], v[26:27]
	v_mul_f64_e32 v[14:15], v[14:15], v[24:25]
	s_wait_dscnt 0x4
	v_mul_f64_e32 v[50:51], v[6:7], v[30:31]
	v_mul_f64_e32 v[6:7], v[6:7], v[28:29]
	;; [unrolled: 3-line block ×6, first 2 shown]
	v_mad_co_u64_u32 v[65:66], null, s5, v143, v[63:64]
	v_mov_b32_e32 v61, v64
	s_delay_alu instid0(VALU_DEP_2)
	v_mov_b32_e32 v63, v65
	v_fma_f64 v[24:25], v[12:13], v[24:25], v[48:49]
	v_fma_f64 v[12:13], v[12:13], v[26:27], -v[14:15]
	v_fma_f64 v[14:15], v[4:5], v[28:29], v[50:51]
	v_fma_f64 v[6:7], v[4:5], v[30:31], -v[6:7]
	;; [unrolled: 2-line block ×6, first 2 shown]
	v_lshlrev_b64_e32 v[0:1], 4, v[60:61]
	v_lshlrev_b64_e32 v[2:3], 4, v[62:63]
	s_delay_alu instid0(VALU_DEP_2) | instskip(SKIP_1) | instid1(VALU_DEP_3)
	v_add_co_u32 v0, vcc_lo, s2, v0
	s_wait_alu 0xfffd
	v_add_co_ci_u32_e32 v1, vcc_lo, s3, v1, vcc_lo
	s_mul_u64 s[2:3], s[4:5], 0x2a00
	s_delay_alu instid0(VALU_DEP_2) | instskip(SKIP_1) | instid1(VALU_DEP_2)
	v_add_co_u32 v36, vcc_lo, v0, v2
	s_wait_alu 0xfffd
	v_add_co_ci_u32_e32 v37, vcc_lo, v1, v3, vcc_lo
	s_wait_alu 0xfffe
	s_delay_alu instid0(VALU_DEP_2) | instskip(SKIP_1) | instid1(VALU_DEP_2)
	v_add_co_u32 v38, vcc_lo, v36, s2
	s_wait_alu 0xfffd
	v_add_co_ci_u32_e32 v39, vcc_lo, s3, v37, vcc_lo
	v_mul_f64_e32 v[0:1], s[0:1], v[24:25]
	v_mul_f64_e32 v[2:3], s[0:1], v[12:13]
	;; [unrolled: 1-line block ×12, first 2 shown]
	v_mad_co_u64_u32 v[24:25], null, 0xffffe400, s4, v[38:39]
	s_mul_i32 s0, s5, 0xffffe400
	s_wait_alu 0xfffe
	s_sub_co_i32 s0, s0, s4
	s_wait_alu 0xfffe
	s_delay_alu instid0(VALU_DEP_1) | instskip(NEXT) | instid1(VALU_DEP_2)
	v_add_nc_u32_e32 v25, s0, v25
	v_add_co_u32 v26, vcc_lo, v24, s2
	s_wait_alu 0xfffd
	s_delay_alu instid0(VALU_DEP_2) | instskip(NEXT) | instid1(VALU_DEP_1)
	v_add_co_ci_u32_e32 v27, vcc_lo, s3, v25, vcc_lo
	v_mad_co_u64_u32 v[28:29], null, 0xffffe400, s4, v[26:27]
	s_delay_alu instid0(VALU_DEP_1) | instskip(NEXT) | instid1(VALU_DEP_2)
	v_add_nc_u32_e32 v29, s0, v29
	v_add_co_u32 v30, vcc_lo, v28, s2
	s_wait_alu 0xfffd
	s_delay_alu instid0(VALU_DEP_2)
	v_add_co_ci_u32_e32 v31, vcc_lo, s3, v29, vcc_lo
	s_clause 0x4
	global_store_b128 v[36:37], v[0:3], off
	global_store_b128 v[38:39], v[4:7], off
	global_store_b128 v[24:25], v[8:11], off
	global_store_b128 v[26:27], v[12:15], off
	global_store_b128 v[28:29], v[16:19], off
	global_store_b128 v[30:31], v[20:23], off
.LBB0_10:
	s_nop 0
	s_sendmsg sendmsg(MSG_DEALLOC_VGPRS)
	s_endpgm
	.section	.rodata,"a",@progbits
	.p2align	6, 0x0
	.amdhsa_kernel bluestein_single_back_len1344_dim1_dp_op_CI_CI
		.amdhsa_group_segment_fixed_size 21504
		.amdhsa_private_segment_fixed_size 0
		.amdhsa_kernarg_size 104
		.amdhsa_user_sgpr_count 2
		.amdhsa_user_sgpr_dispatch_ptr 0
		.amdhsa_user_sgpr_queue_ptr 0
		.amdhsa_user_sgpr_kernarg_segment_ptr 1
		.amdhsa_user_sgpr_dispatch_id 0
		.amdhsa_user_sgpr_private_segment_size 0
		.amdhsa_wavefront_size32 1
		.amdhsa_uses_dynamic_stack 0
		.amdhsa_enable_private_segment 0
		.amdhsa_system_sgpr_workgroup_id_x 1
		.amdhsa_system_sgpr_workgroup_id_y 0
		.amdhsa_system_sgpr_workgroup_id_z 0
		.amdhsa_system_sgpr_workgroup_info 0
		.amdhsa_system_vgpr_workitem_id 0
		.amdhsa_next_free_vgpr 171
		.amdhsa_next_free_sgpr 20
		.amdhsa_reserve_vcc 1
		.amdhsa_float_round_mode_32 0
		.amdhsa_float_round_mode_16_64 0
		.amdhsa_float_denorm_mode_32 3
		.amdhsa_float_denorm_mode_16_64 3
		.amdhsa_fp16_overflow 0
		.amdhsa_workgroup_processor_mode 1
		.amdhsa_memory_ordered 1
		.amdhsa_forward_progress 0
		.amdhsa_round_robin_scheduling 0
		.amdhsa_exception_fp_ieee_invalid_op 0
		.amdhsa_exception_fp_denorm_src 0
		.amdhsa_exception_fp_ieee_div_zero 0
		.amdhsa_exception_fp_ieee_overflow 0
		.amdhsa_exception_fp_ieee_underflow 0
		.amdhsa_exception_fp_ieee_inexact 0
		.amdhsa_exception_int_div_zero 0
	.end_amdhsa_kernel
	.text
.Lfunc_end0:
	.size	bluestein_single_back_len1344_dim1_dp_op_CI_CI, .Lfunc_end0-bluestein_single_back_len1344_dim1_dp_op_CI_CI
                                        ; -- End function
	.section	.AMDGPU.csdata,"",@progbits
; Kernel info:
; codeLenInByte = 9424
; NumSgprs: 22
; NumVgprs: 171
; ScratchSize: 0
; MemoryBound: 0
; FloatMode: 240
; IeeeMode: 1
; LDSByteSize: 21504 bytes/workgroup (compile time only)
; SGPRBlocks: 2
; VGPRBlocks: 21
; NumSGPRsForWavesPerEU: 22
; NumVGPRsForWavesPerEU: 171
; Occupancy: 8
; WaveLimiterHint : 1
; COMPUTE_PGM_RSRC2:SCRATCH_EN: 0
; COMPUTE_PGM_RSRC2:USER_SGPR: 2
; COMPUTE_PGM_RSRC2:TRAP_HANDLER: 0
; COMPUTE_PGM_RSRC2:TGID_X_EN: 1
; COMPUTE_PGM_RSRC2:TGID_Y_EN: 0
; COMPUTE_PGM_RSRC2:TGID_Z_EN: 0
; COMPUTE_PGM_RSRC2:TIDIG_COMP_CNT: 0
	.text
	.p2alignl 7, 3214868480
	.fill 96, 4, 3214868480
	.type	__hip_cuid_df0b5e06318879c5,@object ; @__hip_cuid_df0b5e06318879c5
	.section	.bss,"aw",@nobits
	.globl	__hip_cuid_df0b5e06318879c5
__hip_cuid_df0b5e06318879c5:
	.byte	0                               ; 0x0
	.size	__hip_cuid_df0b5e06318879c5, 1

	.ident	"AMD clang version 19.0.0git (https://github.com/RadeonOpenCompute/llvm-project roc-6.4.0 25133 c7fe45cf4b819c5991fe208aaa96edf142730f1d)"
	.section	".note.GNU-stack","",@progbits
	.addrsig
	.addrsig_sym __hip_cuid_df0b5e06318879c5
	.amdgpu_metadata
---
amdhsa.kernels:
  - .args:
      - .actual_access:  read_only
        .address_space:  global
        .offset:         0
        .size:           8
        .value_kind:     global_buffer
      - .actual_access:  read_only
        .address_space:  global
        .offset:         8
        .size:           8
        .value_kind:     global_buffer
      - .actual_access:  read_only
        .address_space:  global
        .offset:         16
        .size:           8
        .value_kind:     global_buffer
      - .actual_access:  read_only
        .address_space:  global
        .offset:         24
        .size:           8
        .value_kind:     global_buffer
      - .actual_access:  read_only
        .address_space:  global
        .offset:         32
        .size:           8
        .value_kind:     global_buffer
      - .offset:         40
        .size:           8
        .value_kind:     by_value
      - .address_space:  global
        .offset:         48
        .size:           8
        .value_kind:     global_buffer
      - .address_space:  global
        .offset:         56
        .size:           8
        .value_kind:     global_buffer
      - .address_space:  global
        .offset:         64
        .size:           8
        .value_kind:     global_buffer
      - .address_space:  global
        .offset:         72
        .size:           8
        .value_kind:     global_buffer
      - .offset:         80
        .size:           4
        .value_kind:     by_value
      - .address_space:  global
        .offset:         88
        .size:           8
        .value_kind:     global_buffer
      - .address_space:  global
        .offset:         96
        .size:           8
        .value_kind:     global_buffer
    .group_segment_fixed_size: 21504
    .kernarg_segment_align: 8
    .kernarg_segment_size: 104
    .language:       OpenCL C
    .language_version:
      - 2
      - 0
    .max_flat_workgroup_size: 224
    .name:           bluestein_single_back_len1344_dim1_dp_op_CI_CI
    .private_segment_fixed_size: 0
    .sgpr_count:     22
    .sgpr_spill_count: 0
    .symbol:         bluestein_single_back_len1344_dim1_dp_op_CI_CI.kd
    .uniform_work_group_size: 1
    .uses_dynamic_stack: false
    .vgpr_count:     171
    .vgpr_spill_count: 0
    .wavefront_size: 32
    .workgroup_processor_mode: 1
amdhsa.target:   amdgcn-amd-amdhsa--gfx1201
amdhsa.version:
  - 1
  - 2
...

	.end_amdgpu_metadata
